;; amdgpu-corpus repo=ROCm/rocFFT kind=compiled arch=gfx950 opt=O3
	.text
	.amdgcn_target "amdgcn-amd-amdhsa--gfx950"
	.amdhsa_code_object_version 6
	.protected	fft_rtc_fwd_len112_factors_4_4_7_wgs_126_tpt_7_halfLds_dim1_sp_op_CI_CI_unitstride_sbrr_R2C_dirReg ; -- Begin function fft_rtc_fwd_len112_factors_4_4_7_wgs_126_tpt_7_halfLds_dim1_sp_op_CI_CI_unitstride_sbrr_R2C_dirReg
	.globl	fft_rtc_fwd_len112_factors_4_4_7_wgs_126_tpt_7_halfLds_dim1_sp_op_CI_CI_unitstride_sbrr_R2C_dirReg
	.p2align	8
	.type	fft_rtc_fwd_len112_factors_4_4_7_wgs_126_tpt_7_halfLds_dim1_sp_op_CI_CI_unitstride_sbrr_R2C_dirReg,@function
fft_rtc_fwd_len112_factors_4_4_7_wgs_126_tpt_7_halfLds_dim1_sp_op_CI_CI_unitstride_sbrr_R2C_dirReg: ; @fft_rtc_fwd_len112_factors_4_4_7_wgs_126_tpt_7_halfLds_dim1_sp_op_CI_CI_unitstride_sbrr_R2C_dirReg
; %bb.0:
	v_mul_u32_u24_e32 v1, 0x2493, v0
	v_lshrrev_b32_e32 v2, 16, v1
	s_load_dwordx2 s[6:7], s[0:1], 0x0
	s_load_dwordx2 s[8:9], s[0:1], 0x20
	v_mad_u64_u32 v[48:49], s[2:3], s2, 18, v[2:3]
	s_mov_b32 s2, 0x38e38e39
	s_nop 0
	v_mul_hi_u32 v1, v48, s2
	v_lshrrev_b32_e32 v1, 2, v1
	v_mov_b32_e32 v49, 0
	v_mul_lo_u32 v1, v1, 18
	s_movk_i32 s4, 0x2493
	v_sub_u32_e32 v1, v48, v1
	s_waitcnt lgkmcnt(0)
	v_cmp_gt_u64_e32 vcc, s[8:9], v[48:49]
	v_cmp_le_u64_e64 s[2:3], s[8:9], v[48:49]
                                        ; implicit-def: $vgpr45
                                        ; implicit-def: $vgpr44
                                        ; implicit-def: $vgpr46
                                        ; implicit-def: $vgpr50
                                        ; implicit-def: $vgpr52
	s_and_saveexec_b64 s[8:9], s[2:3]
	s_xor_b64 s[2:3], exec, s[8:9]
; %bb.1:
	v_mul_u32_u24_sdwa v2, v0, s4 dst_sel:DWORD dst_unused:UNUSED_PAD src0_sel:WORD_0 src1_sel:DWORD
	v_mov_b32_e32 v3, 7
	v_mul_lo_u16_sdwa v2, v2, v3 dst_sel:DWORD dst_unused:UNUSED_PAD src0_sel:WORD_1 src1_sel:DWORD
	v_sub_u16_e32 v44, v0, v2
	v_sub_u16_e32 v45, v0, v2
	v_add_u32_e32 v46, 7, v44
	v_add_u32_e32 v50, 14, v44
	;; [unrolled: 1-line block ×3, first 2 shown]
                                        ; implicit-def: $vgpr2
                                        ; implicit-def: $vgpr0
; %bb.2:
	s_or_saveexec_b64 s[2:3], s[2:3]
	s_load_dwordx2 s[4:5], s[0:1], 0x18
	v_mul_u32_u24_e32 v1, 0x71, v1
	v_lshlrev_b32_e32 v53, 3, v1
	s_xor_b64 exec, exec, s[2:3]
	s_cbranch_execz .LBB0_4
; %bb.3:
	s_load_dwordx2 s[8:9], s[0:1], 0x10
	s_load_dwordx2 s[10:11], s[0:1], 0x50
	v_mul_lo_u16_e32 v1, 7, v2
	v_sub_u16_e32 v44, v0, v1
	v_mov_b32_e32 v3, 0
	s_waitcnt lgkmcnt(0)
	s_load_dwordx2 s[8:9], s[8:9], 0x8
	v_lshlrev_b32_e32 v2, 3, v44
	v_sub_u16_e32 v45, v0, v1
	v_add_u32_e32 v46, 7, v44
	v_add_u32_e32 v50, 14, v44
	s_waitcnt lgkmcnt(0)
	v_mad_u64_u32 v[4:5], s[12:13], s8, v48, 0
	v_mov_b32_e32 v6, v5
	v_mad_u64_u32 v[6:7], s[8:9], s9, v48, v[6:7]
	v_mov_b32_e32 v5, v6
	v_lshl_add_u64 v[4:5], v[4:5], 3, s[10:11]
	v_lshl_add_u64 v[4:5], v[4:5], 0, v[2:3]
	global_load_dwordx2 v[6:7], v[4:5], off
	global_load_dwordx2 v[8:9], v[4:5], off offset:56
	global_load_dwordx2 v[10:11], v[4:5], off offset:112
	;; [unrolled: 1-line block ×14, first 2 shown]
	s_nop 0
	global_load_dwordx2 v[4:5], v[4:5], off offset:840
	v_add_u32_e32 v52, 21, v44
	v_add3_u32 v0, 0, v53, v2
	s_waitcnt vmcnt(14)
	ds_write2_b64 v0, v[6:7], v[8:9] offset1:7
	s_waitcnt vmcnt(12)
	ds_write2_b64 v0, v[10:11], v[12:13] offset0:14 offset1:21
	s_waitcnt vmcnt(10)
	ds_write2_b64 v0, v[14:15], v[16:17] offset0:28 offset1:35
	s_waitcnt vmcnt(8)
	ds_write2_b64 v0, v[18:19], v[20:21] offset0:42 offset1:49
	s_waitcnt vmcnt(6)
	ds_write2_b64 v0, v[22:23], v[24:25] offset0:56 offset1:63
	s_waitcnt vmcnt(4)
	ds_write2_b64 v0, v[26:27], v[28:29] offset0:70 offset1:77
	s_waitcnt vmcnt(2)
	ds_write2_b64 v0, v[30:31], v[32:33] offset0:84 offset1:91
	s_waitcnt vmcnt(0)
	ds_write2_b64 v0, v[34:35], v[4:5] offset0:98 offset1:105
.LBB0_4:
	s_or_b64 exec, exec, s[2:3]
	v_lshlrev_b32_e32 v47, 3, v44
	v_add3_u32 v51, 0, v47, v53
	s_waitcnt lgkmcnt(0)
	s_load_dwordx2 s[4:5], s[4:5], 0x8
	s_waitcnt lgkmcnt(0)
	s_barrier
	v_add_u32_e32 v49, 0, v53
	ds_read2_b64 v[0:3], v51 offset0:21 offset1:28
	ds_read2_b64 v[4:7], v51 offset0:77 offset1:84
	;; [unrolled: 1-line block ×3, first 2 shown]
	ds_read_b64 v[12:13], v51 offset:840
	v_add_u32_e32 v62, v49, v47
	ds_read_b64 v[28:29], v62
	v_mad_u32_u24 v34, v44, 24, v51
	s_waitcnt lgkmcnt(3)
	v_pk_add_f32 v[6:7], v[2:3], v[6:7] neg_lo:[0,1] neg_hi:[0,1]
	s_waitcnt lgkmcnt(1)
	v_pk_add_f32 v[30:31], v[8:9], v[12:13] neg_lo:[0,1] neg_hi:[0,1]
	ds_read2_b64 v[12:15], v51 offset0:7 offset1:14
	ds_read2_b64 v[16:19], v51 offset0:63 offset1:70
	;; [unrolled: 1-line block ×4, first 2 shown]
	s_waitcnt lgkmcnt(4)
	v_pk_add_f32 v[10:11], v[28:29], v[10:11] neg_lo:[0,1] neg_hi:[0,1]
	v_pk_fma_f32 v[2:3], v[2:3], 2.0, v[6:7] op_sel_hi:[1,0,1] neg_lo:[0,0,1] neg_hi:[0,0,1]
	v_pk_fma_f32 v[28:29], v[28:29], 2.0, v[10:11] op_sel_hi:[1,0,1] neg_lo:[0,0,1] neg_hi:[0,0,1]
	v_pk_add_f32 v[32:33], v[10:11], v[6:7] op_sel:[0,1] op_sel_hi:[1,0] neg_lo:[0,1] neg_hi:[0,1]
	v_pk_add_f32 v[6:7], v[10:11], v[6:7] op_sel:[0,1] op_sel_hi:[1,0]
	v_pk_add_f32 v[2:3], v[28:29], v[2:3] neg_lo:[0,1] neg_hi:[0,1]
	v_mov_b32_e32 v33, v7
	s_waitcnt lgkmcnt(2)
	v_pk_add_f32 v[16:17], v[12:13], v[16:17] neg_lo:[0,1] neg_hi:[0,1]
	s_waitcnt lgkmcnt(0)
	v_pk_add_f32 v[24:25], v[20:21], v[24:25] neg_lo:[0,1] neg_hi:[0,1]
	v_pk_fma_f32 v[28:29], v[28:29], 2.0, v[2:3] op_sel_hi:[1,0,1] neg_lo:[0,0,1] neg_hi:[0,0,1]
	v_pk_fma_f32 v[10:11], v[10:11], 2.0, v[32:33] op_sel_hi:[1,0,1] neg_lo:[0,0,1] neg_hi:[0,0,1]
	v_pk_fma_f32 v[12:13], v[12:13], 2.0, v[16:17] op_sel_hi:[1,0,1] neg_lo:[0,0,1] neg_hi:[0,0,1]
	v_pk_fma_f32 v[20:21], v[20:21], 2.0, v[24:25] op_sel_hi:[1,0,1] neg_lo:[0,0,1] neg_hi:[0,0,1]
	s_barrier
	ds_write2_b64 v34, v[28:29], v[10:11] offset1:1
	ds_write2_b64 v34, v[2:3], v[32:33] offset0:2 offset1:3
	v_pk_add_f32 v[2:3], v[16:17], v[24:25] op_sel:[0,1] op_sel_hi:[1,0] neg_lo:[0,1] neg_hi:[0,1]
	v_pk_add_f32 v[6:7], v[16:17], v[24:25] op_sel:[0,1] op_sel_hi:[1,0]
	v_pk_add_f32 v[20:21], v[12:13], v[20:21] neg_lo:[0,1] neg_hi:[0,1]
	v_mov_b32_e32 v3, v7
	v_lshl_add_u32 v54, v46, 5, v49
	v_pk_add_f32 v[18:19], v[14:15], v[18:19] neg_lo:[0,1] neg_hi:[0,1]
	v_pk_add_f32 v[26:27], v[22:23], v[26:27] neg_lo:[0,1] neg_hi:[0,1]
	v_pk_fma_f32 v[12:13], v[12:13], 2.0, v[20:21] op_sel_hi:[1,0,1] neg_lo:[0,0,1] neg_hi:[0,0,1]
	v_pk_fma_f32 v[10:11], v[16:17], 2.0, v[2:3] op_sel_hi:[1,0,1] neg_lo:[0,0,1] neg_hi:[0,0,1]
	;; [unrolled: 1-line block ×4, first 2 shown]
	ds_write2_b64 v54, v[12:13], v[10:11] offset1:1
	ds_write2_b64 v54, v[20:21], v[2:3] offset0:2 offset1:3
	v_pk_add_f32 v[2:3], v[18:19], v[26:27] op_sel:[0,1] op_sel_hi:[1,0] neg_lo:[0,1] neg_hi:[0,1]
	v_pk_add_f32 v[6:7], v[18:19], v[26:27] op_sel:[0,1] op_sel_hi:[1,0]
	v_pk_add_f32 v[22:23], v[14:15], v[22:23] neg_lo:[0,1] neg_hi:[0,1]
	v_mov_b32_e32 v3, v7
	v_lshl_add_u32 v55, v50, 5, v49
	v_pk_add_f32 v[4:5], v[0:1], v[4:5] neg_lo:[0,1] neg_hi:[0,1]
	v_pk_fma_f32 v[14:15], v[14:15], 2.0, v[22:23] op_sel_hi:[1,0,1] neg_lo:[0,0,1] neg_hi:[0,0,1]
	v_pk_fma_f32 v[10:11], v[18:19], 2.0, v[2:3] op_sel_hi:[1,0,1] neg_lo:[0,0,1] neg_hi:[0,0,1]
	;; [unrolled: 1-line block ×4, first 2 shown]
	ds_write2_b64 v55, v[14:15], v[10:11] offset1:1
	ds_write2_b64 v55, v[22:23], v[2:3] offset0:2 offset1:3
	v_pk_add_f32 v[2:3], v[4:5], v[30:31] op_sel:[0,1] op_sel_hi:[1,0] neg_lo:[0,1] neg_hi:[0,1]
	v_pk_add_f32 v[6:7], v[4:5], v[30:31] op_sel:[0,1] op_sel_hi:[1,0]
	v_pk_add_f32 v[8:9], v[0:1], v[8:9] neg_lo:[0,1] neg_hi:[0,1]
	v_mov_b32_e32 v3, v7
	v_lshl_add_u32 v56, v52, 5, v49
	v_pk_fma_f32 v[0:1], v[0:1], 2.0, v[8:9] op_sel_hi:[1,0,1] neg_lo:[0,0,1] neg_hi:[0,0,1]
	v_pk_fma_f32 v[4:5], v[4:5], 2.0, v[2:3] op_sel_hi:[1,0,1] neg_lo:[0,0,1] neg_hi:[0,0,1]
	v_and_b32_e32 v64, 3, v52
	ds_write2_b64 v56, v[0:1], v[4:5] offset1:1
	ds_write2_b64 v56, v[8:9], v[2:3] offset0:2 offset1:3
	v_mul_u32_u24_e32 v0, 3, v64
	v_lshlrev_b32_e32 v16, 3, v0
	s_waitcnt lgkmcnt(0)
	s_barrier
	global_load_dwordx4 v[0:3], v16, s[6:7]
	v_and_b32_e32 v65, 3, v50
	v_mul_u32_u24_e32 v4, 3, v65
	v_lshlrev_b32_e32 v17, 3, v4
	global_load_dwordx4 v[4:7], v17, s[6:7]
	v_and_b32_e32 v57, 3, v46
	v_mul_u32_u24_e32 v8, 3, v57
	v_lshlrev_b32_e32 v18, 3, v8
	;; [unrolled: 4-line block ×3, first 2 shown]
	global_load_dwordx4 v[12:15], v19, s[6:7]
	global_load_dwordx2 v[28:29], v16, s[6:7] offset:16
	global_load_dwordx2 v[30:31], v17, s[6:7] offset:16
	;; [unrolled: 1-line block ×4, first 2 shown]
	ds_read2_b64 v[16:19], v51 offset0:42 offset1:49
	ds_read2_b64 v[20:23], v51 offset0:56 offset1:63
	;; [unrolled: 1-line block ×3, first 2 shown]
	s_movk_i32 s2, 0xffe8
	v_mad_i32_i24 v63, v46, s2, v54
	s_waitcnt vmcnt(7) lgkmcnt(2)
	v_pk_mul_f32 v[36:37], v[18:19], v[0:1] op_sel:[0,1]
	s_nop 0
	v_pk_fma_f32 v[38:39], v[18:19], v[0:1], v[36:37] op_sel:[0,0,1] op_sel_hi:[1,1,0] neg_lo:[0,0,1] neg_hi:[0,0,1]
	v_pk_fma_f32 v[18:19], v[18:19], v[0:1], v[36:37] op_sel:[0,0,1] op_sel_hi:[1,0,0]
	v_mov_b32_e32 v0, v3
	s_waitcnt lgkmcnt(0)
	v_pk_mul_f32 v[0:1], v[26:27], v[0:1] op_sel_hi:[1,0]
	v_mov_b32_e32 v39, v19
	v_pk_fma_f32 v[36:37], v[26:27], v[2:3], v[0:1] op_sel:[0,0,1] op_sel_hi:[1,1,0] neg_lo:[0,0,1] neg_hi:[0,0,1]
	v_pk_fma_f32 v[26:27], v[26:27], v[2:3], v[0:1] op_sel:[0,0,1] op_sel_hi:[1,0,0]
	s_waitcnt vmcnt(6)
	v_pk_mul_f32 v[0:1], v[16:17], v[4:5] op_sel:[0,1]
	v_mov_b32_e32 v37, v27
	v_pk_fma_f32 v[40:41], v[16:17], v[4:5], v[0:1] op_sel:[0,0,1] op_sel_hi:[1,1,0] neg_lo:[0,0,1] neg_hi:[0,0,1]
	v_pk_fma_f32 v[16:17], v[16:17], v[4:5], v[0:1] op_sel:[0,0,1] op_sel_hi:[1,0,0]
	ds_read2_b64 v[0:3], v51 offset0:28 offset1:35
	v_mov_b32_e32 v4, v7
	v_pk_mul_f32 v[4:5], v[24:25], v[4:5] op_sel_hi:[1,0]
	v_mov_b32_e32 v41, v17
	v_pk_fma_f32 v[42:43], v[24:25], v[6:7], v[4:5] op_sel:[0,0,1] op_sel_hi:[1,1,0] neg_lo:[0,0,1] neg_hi:[0,0,1]
	v_pk_fma_f32 v[6:7], v[24:25], v[6:7], v[4:5] op_sel:[0,0,1] op_sel_hi:[1,0,0]
	s_waitcnt vmcnt(5) lgkmcnt(0)
	v_pk_mul_f32 v[4:5], v[2:3], v[8:9] op_sel:[0,1]
	v_mov_b32_e32 v43, v7
	v_pk_fma_f32 v[24:25], v[2:3], v[8:9], v[4:5] op_sel:[0,0,1] op_sel_hi:[1,1,0] neg_lo:[0,0,1] neg_hi:[0,0,1]
	v_pk_fma_f32 v[8:9], v[2:3], v[8:9], v[4:5] op_sel:[0,0,1] op_sel_hi:[1,0,0]
	v_mov_b32_e32 v2, v11
	v_pk_mul_f32 v[2:3], v[22:23], v[2:3] op_sel_hi:[1,0]
	v_mov_b32_e32 v25, v9
	v_pk_fma_f32 v[58:59], v[22:23], v[10:11], v[2:3] op_sel:[0,0,1] op_sel_hi:[1,1,0] neg_lo:[0,0,1] neg_hi:[0,0,1]
	v_pk_fma_f32 v[10:11], v[22:23], v[10:11], v[2:3] op_sel:[0,0,1] op_sel_hi:[1,0,0]
	ds_read2_b64 v[2:5], v51 offset0:98 offset1:105
	s_waitcnt vmcnt(4)
	v_pk_mul_f32 v[22:23], v[12:13], v[0:1] op_sel:[0,1]
	v_mov_b32_e32 v59, v11
	v_pk_fma_f32 v[60:61], v[12:13], v[0:1], v[22:23] op_sel:[0,0,1] op_sel_hi:[1,1,0] neg_lo:[0,0,1] neg_hi:[0,0,1]
	v_pk_fma_f32 v[0:1], v[12:13], v[0:1], v[22:23] op_sel:[0,0,1] op_sel_hi:[1,0,0]
	v_pk_mul_f32 v[12:13], v[14:15], v[20:21] op_sel:[0,1]
	v_mov_b32_e32 v61, v1
	v_pk_fma_f32 v[22:23], v[14:15], v[20:21], v[12:13] op_sel:[0,0,1] op_sel_hi:[1,1,0] neg_lo:[0,0,1] neg_hi:[0,0,1]
	v_pk_fma_f32 v[12:13], v[14:15], v[20:21], v[12:13] op_sel:[0,0,1] op_sel_hi:[1,0,0]
	s_waitcnt vmcnt(3) lgkmcnt(0)
	v_pk_mul_f32 v[14:15], v[4:5], v[28:29] op_sel:[0,1]
	v_lshlrev_b32_e32 v12, 2, v46
	v_pk_fma_f32 v[20:21], v[4:5], v[28:29], v[14:15] op_sel:[0,0,1] op_sel_hi:[1,1,0] neg_lo:[0,0,1] neg_hi:[0,0,1]
	v_pk_fma_f32 v[4:5], v[4:5], v[28:29], v[14:15] op_sel:[0,0,1] op_sel_hi:[1,0,0]
	s_waitcnt vmcnt(2)
	v_pk_mul_f32 v[14:15], v[2:3], v[30:31] op_sel:[0,1]
	v_mov_b32_e32 v21, v5
	ds_read2_b64 v[4:7], v51 offset0:84 offset1:91
	v_pk_fma_f32 v[28:29], v[2:3], v[30:31], v[14:15] op_sel:[0,0,1] op_sel_hi:[1,1,0] neg_lo:[0,0,1] neg_hi:[0,0,1]
	v_pk_fma_f32 v[2:3], v[2:3], v[30:31], v[14:15] op_sel:[0,0,1] op_sel_hi:[1,0,0]
	v_mov_b32_e32 v23, v13
	v_mov_b32_e32 v29, v3
	s_waitcnt vmcnt(1) lgkmcnt(0)
	v_pk_mul_f32 v[8:9], v[6:7], v[32:33] op_sel:[0,1]
	v_mad_i32_i24 v2, v50, s2, v55
	v_pk_fma_f32 v[10:11], v[6:7], v[32:33], v[8:9] op_sel:[0,0,1] op_sel_hi:[1,1,0] neg_lo:[0,0,1] neg_hi:[0,0,1]
	v_pk_fma_f32 v[6:7], v[6:7], v[32:33], v[8:9] op_sel:[0,0,1] op_sel_hi:[1,0,0]
	v_mad_i32_i24 v3, v52, s2, v56
	v_mov_b32_e32 v11, v7
	s_waitcnt vmcnt(0)
	v_pk_mul_f32 v[6:7], v[34:35], v[4:5] op_sel:[0,1]
	s_movk_i32 s2, 0x70
	v_pk_fma_f32 v[8:9], v[34:35], v[4:5], v[6:7] op_sel:[0,0,1] op_sel_hi:[1,1,0] neg_lo:[0,0,1] neg_hi:[0,0,1]
	v_pk_fma_f32 v[4:5], v[34:35], v[4:5], v[6:7] op_sel:[0,0,1] op_sel_hi:[1,0,0]
	ds_read_b64 v[6:7], v62
	ds_read_b64 v[14:15], v63
	;; [unrolled: 1-line block ×4, first 2 shown]
	v_lshlrev_b32_e32 v4, 2, v50
	v_and_or_b32 v9, v12, 48, v57
	v_lshl_add_u32 v35, v9, 3, v49
	v_and_or_b32 v4, v4, s2, v65
	v_mov_b32_e32 v9, v5
	s_waitcnt lgkmcnt(0)
	v_pk_add_f32 v[26:27], v[18:19], v[36:37] neg_lo:[0,1] neg_hi:[0,1]
	v_lshl_add_u32 v36, v4, 3, v49
	v_pk_add_f32 v[4:5], v[6:7], v[22:23] neg_lo:[0,1] neg_hi:[0,1]
	v_pk_add_f32 v[8:9], v[60:61], v[8:9] neg_lo:[0,1] neg_hi:[0,1]
	v_lshlrev_b32_e32 v0, 2, v44
	v_pk_add_f32 v[20:21], v[38:39], v[20:21] neg_lo:[0,1] neg_hi:[0,1]
	v_pk_fma_f32 v[6:7], v[6:7], 2.0, v[4:5] op_sel_hi:[1,0,1] neg_lo:[0,0,1] neg_hi:[0,0,1]
	v_pk_fma_f32 v[22:23], v[60:61], 2.0, v[8:9] op_sel_hi:[1,0,1] neg_lo:[0,0,1] neg_hi:[0,0,1]
	v_pk_add_f32 v[32:33], v[4:5], v[8:9] op_sel:[0,1] op_sel_hi:[1,0] neg_lo:[0,1] neg_hi:[0,1]
	v_pk_add_f32 v[8:9], v[4:5], v[8:9] op_sel:[0,1] op_sel_hi:[1,0]
	v_and_or_b32 v3, v0, 16, v66
	v_pk_fma_f32 v[18:19], v[18:19], 2.0, v[26:27] op_sel_hi:[1,0,1] neg_lo:[0,0,1] neg_hi:[0,0,1]
	v_pk_fma_f32 v[30:31], v[38:39], 2.0, v[20:21] op_sel_hi:[1,0,1] neg_lo:[0,0,1] neg_hi:[0,0,1]
	v_pk_add_f32 v[22:23], v[6:7], v[22:23] neg_lo:[0,1] neg_hi:[0,1]
	v_mov_b32_e32 v33, v9
	v_pk_add_f32 v[54:55], v[18:19], v[30:31] neg_lo:[0,1] neg_hi:[0,1]
	v_lshl_add_u32 v3, v3, 3, v49
	v_pk_add_f32 v[30:31], v[14:15], v[58:59] neg_lo:[0,1] neg_hi:[0,1]
	v_pk_add_f32 v[10:11], v[24:25], v[10:11] neg_lo:[0,1] neg_hi:[0,1]
	v_pk_fma_f32 v[6:7], v[6:7], 2.0, v[22:23] op_sel_hi:[1,0,1] neg_lo:[0,0,1] neg_hi:[0,0,1]
	v_pk_fma_f32 v[4:5], v[4:5], 2.0, v[32:33] op_sel_hi:[1,0,1] neg_lo:[0,0,1] neg_hi:[0,0,1]
	;; [unrolled: 1-line block ×4, first 2 shown]
	s_barrier
	ds_write2_b64 v3, v[6:7], v[4:5] offset1:4
	ds_write2_b64 v3, v[22:23], v[32:33] offset0:8 offset1:12
	v_pk_add_f32 v[4:5], v[30:31], v[10:11] op_sel:[0,1] op_sel_hi:[1,0] neg_lo:[0,1] neg_hi:[0,1]
	v_pk_add_f32 v[6:7], v[30:31], v[10:11] op_sel:[0,1] op_sel_hi:[1,0]
	v_pk_add_f32 v[24:25], v[14:15], v[24:25] neg_lo:[0,1] neg_hi:[0,1]
	v_mov_b32_e32 v5, v7
	v_pk_add_f32 v[56:57], v[26:27], v[20:21] op_sel:[0,1] op_sel_hi:[1,0]
	v_pk_add_f32 v[0:1], v[26:27], v[20:21] op_sel:[0,1] op_sel_hi:[1,0] neg_lo:[0,1] neg_hi:[0,1]
	v_pk_add_f32 v[12:13], v[16:17], v[42:43] neg_lo:[0,1] neg_hi:[0,1]
	v_pk_add_f32 v[20:21], v[40:41], v[28:29] neg_lo:[0,1] neg_hi:[0,1]
	v_pk_fma_f32 v[14:15], v[14:15], 2.0, v[24:25] op_sel_hi:[1,0,1] neg_lo:[0,0,1] neg_hi:[0,0,1]
	v_pk_fma_f32 v[6:7], v[30:31], 2.0, v[4:5] op_sel_hi:[1,0,1] neg_lo:[0,0,1] neg_hi:[0,0,1]
	;; [unrolled: 1-line block ×4, first 2 shown]
	ds_write2_b64 v35, v[14:15], v[6:7] offset1:4
	ds_write2_b64 v35, v[24:25], v[4:5] offset0:8 offset1:12
	v_pk_add_f32 v[4:5], v[12:13], v[20:21] op_sel:[0,1] op_sel_hi:[1,0] neg_lo:[0,1] neg_hi:[0,1]
	v_pk_add_f32 v[6:7], v[12:13], v[20:21] op_sel:[0,1] op_sel_hi:[1,0]
	v_lshlrev_b32_e32 v34, 2, v52
	v_pk_add_f32 v[28:29], v[16:17], v[28:29] neg_lo:[0,1] neg_hi:[0,1]
	v_mov_b32_e32 v5, v7
	v_mov_b32_e32 v1, v57
	v_pk_fma_f32 v[16:17], v[16:17], 2.0, v[28:29] op_sel_hi:[1,0,1] neg_lo:[0,0,1] neg_hi:[0,0,1]
	v_pk_fma_f32 v[6:7], v[12:13], 2.0, v[4:5] op_sel_hi:[1,0,1] neg_lo:[0,0,1] neg_hi:[0,0,1]
	v_and_or_b32 v3, v34, s2, v64
	ds_write2_b64 v36, v[16:17], v[6:7] offset1:4
	ds_write2_b64 v36, v[28:29], v[4:5] offset0:8 offset1:12
	v_lshl_add_u32 v3, v3, 3, v49
	v_pk_fma_f32 v[4:5], v[18:19], 2.0, v[54:55] op_sel_hi:[1,0,1] neg_lo:[0,0,1] neg_hi:[0,0,1]
	v_pk_fma_f32 v[6:7], v[26:27], 2.0, v[0:1] op_sel_hi:[1,0,1] neg_lo:[0,0,1] neg_hi:[0,0,1]
	ds_write2_b64 v3, v[4:5], v[6:7] offset1:4
	ds_write2_b64 v3, v[54:55], v[0:1] offset0:8 offset1:12
	s_waitcnt lgkmcnt(0)
	s_barrier
	ds_read2_b64 v[24:27], v51 offset0:16 offset1:23
	ds_read2_b64 v[12:15], v51 offset0:32 offset1:39
	ds_read2_b64 v[16:19], v51 offset0:48 offset1:55
	ds_read2_b64 v[32:35], v51 offset0:64 offset1:71
	ds_read2_b64 v[20:23], v51 offset0:80 offset1:87
	ds_read2_b64 v[28:31], v51 offset0:96 offset1:103
	ds_read_b64 v[60:61], v62
	ds_read_b64 v[58:59], v63
	v_cmp_gt_u16_e64 s[2:3], 2, v45
                                        ; implicit-def: $vgpr6
                                        ; implicit-def: $vgpr9
	s_and_saveexec_b64 s[8:9], s[2:3]
	s_cbranch_execz .LBB0_6
; %bb.5:
	ds_read_b64 v[54:55], v2
	ds_read2_b64 v[0:3], v51 offset0:30 offset1:46
	ds_read2_b64 v[4:7], v51 offset0:62 offset1:78
	;; [unrolled: 1-line block ×3, first 2 shown]
	s_waitcnt lgkmcnt(2)
	v_mov_b32_e32 v57, v1
.LBB0_6:
	s_or_b64 exec, exec, s[8:9]
	v_mul_i32_i24_e32 v36, 6, v46
	v_mov_b32_e32 v37, 0
	v_lshl_add_u64 v[80:81], v[36:37], 3, s[6:7]
	global_load_dwordx4 v[36:39], v[80:81], off offset:112
	global_load_dwordx4 v[40:43], v[80:81], off offset:96
	v_mul_u32_u24_e32 v1, 6, v44
	v_lshlrev_b32_e32 v1, 3, v1
	global_load_dwordx4 v[64:67], v1, s[6:7] offset:112
	global_load_dwordx4 v[68:71], v1, s[6:7] offset:128
	;; [unrolled: 1-line block ×3, first 2 shown]
	global_load_dwordx4 v[76:79], v[80:81], off offset:128
	s_waitcnt lgkmcnt(5)
	v_mov_b32_e32 v83, v17
	v_mov_b32_e32 v85, v16
	;; [unrolled: 1-line block ×5, first 2 shown]
	s_waitcnt lgkmcnt(3)
	v_mov_b32_e32 v82, v20
	v_mov_b32_e32 v91, v33
	;; [unrolled: 1-line block ×7, first 2 shown]
	s_waitcnt lgkmcnt(2)
	v_mov_b32_e32 v92, v29
	v_mov_b32_e32 v80, v23
	v_mov_b32_e32 v94, v27
	s_mov_b32 s10, 0x3eae86e6
	s_mov_b32 s11, 0xbf08b237
	;; [unrolled: 1-line block ×12, first 2 shown]
	s_waitcnt lgkmcnt(0)
	s_barrier
	s_waitcnt vmcnt(5)
	v_mul_f32_e32 v93, v35, v38
	s_waitcnt vmcnt(4)
	v_pk_mul_f32 v[96:97], v[42:43], v[14:15]
	s_waitcnt vmcnt(3)
	v_mul_f32_e32 v17, v64, v17
	v_mul_f32_e32 v99, v65, v16
	v_mov_b32_e32 v16, v97
	v_mul_f32_e32 v33, v66, v33
	v_pk_fma_f32 v[96:97], v[42:43], v[14:15], v[16:17] neg_lo:[0,0,1] neg_hi:[0,0,1]
	v_mov_b32_e32 v15, v35
	v_mov_b32_e32 v35, v64
	s_waitcnt vmcnt(2)
	v_mov_b32_e32 v64, v69
	v_mov_b32_e32 v103, v66
	s_waitcnt vmcnt(1)
	v_mul_f32_e32 v13, v75, v13
	v_mov_b32_e32 v66, v75
	v_mul_f32_e32 v1, v18, v37
	v_mul_f32_e32 v101, v67, v32
	v_pk_mul_f32 v[64:65], v[64:65], v[82:83]
	v_fma_f32 v16, v74, v12, -v13
	s_waitcnt vmcnt(0)
	v_pk_mul_f32 v[12:13], v[22:23], v[76:77]
	v_pk_mul_f32 v[66:67], v[66:67], v[90:91]
	v_pk_mul_f32 v[82:83], v[72:73], v[24:25] op_sel_hi:[1,0]
	v_mul_f32_e32 v18, v69, v21
	v_mov_b32_e32 v102, v74
	v_pk_fma_f32 v[90:91], v[72:73], v[56:57], v[82:83] op_sel:[0,0,1] op_sel_hi:[1,1,0]
	v_pk_fma_f32 v[24:25], v[72:73], v[24:25], v[82:83] op_sel:[0,1,1] op_sel_hi:[1,1,0] neg_lo:[1,0,0] neg_hi:[1,0,0]
	v_pk_fma_f32 v[72:73], v[74:75], v[88:89], v[66:67]
	v_pk_mul_f32 v[74:75], v[30:31], v[78:79] op_sel_hi:[1,0]
	v_mov_b32_e32 v12, v79
	v_fma_f32 v98, v68, v20, -v18
	v_mov_b32_e32 v18, v79
	v_mul_f32_e32 v95, v34, v39
	v_pk_fma_f32 v[20:21], v[30:31], v[12:13], v[74:75] op_sel:[0,0,1] op_sel_hi:[1,1,0]
	v_pk_fma_f32 v[30:31], v[30:31], v[18:19], v[74:75] op_sel:[0,0,1] op_sel_hi:[1,0,0] neg_lo:[1,0,0] neg_hi:[1,0,0]
	v_pk_mul_f32 v[74:75], v[70:71], v[28:29] op_sel_hi:[1,0]
	v_mov_b32_e32 v34, v68
	v_pk_fma_f32 v[66:67], v[102:103], v[88:89], v[66:67] neg_lo:[0,0,1] neg_hi:[0,0,1]
	v_pk_fma_f32 v[28:29], v[70:71], v[28:29], v[74:75] op_sel:[0,1,1] op_sel_hi:[1,1,0] neg_lo:[1,0,0] neg_hi:[1,0,0]
	v_pk_fma_f32 v[70:71], v[70:71], v[92:93], v[74:75] op_sel:[0,0,1] op_sel_hi:[1,1,0]
	v_pk_fma_f32 v[68:69], v[68:69], v[84:85], v[64:65]
	v_pk_fma_f32 v[34:35], v[34:35], v[84:85], v[64:65] neg_lo:[0,0,1] neg_hi:[0,0,1]
	v_mov_b32_e32 v12, v13
	v_mov_b32_e32 v91, v25
	;; [unrolled: 1-line block ×9, first 2 shown]
	v_pk_fma_f32 v[12:13], v[22:23], v[76:77], v[12:13] neg_lo:[0,0,1] neg_hi:[0,0,1]
	v_mov_b32_e32 v23, v19
	v_mul_f32_e32 v97, v19, v36
	v_pk_add_f32 v[18:19], v[90:91], v[70:71]
	v_pk_add_f32 v[64:65], v[72:73], v[68:69]
	;; [unrolled: 1-line block ×4, first 2 shown]
	v_pk_mul_f32 v[74:75], v[40:41], v[26:27] op_sel_hi:[1,0]
	v_mov_b32_e32 v83, v36
	v_pk_mul_f32 v[14:15], v[38:39], v[14:15]
	v_mov_b32_e32 v36, v77
	v_mov_b32_e32 v32, v25
	;; [unrolled: 1-line block ×9, first 2 shown]
	v_pk_fma_f32 v[26:27], v[40:41], v[26:27], v[74:75] op_sel:[0,1,1] op_sel_hi:[1,1,0] neg_lo:[1,0,0] neg_hi:[1,0,0]
	v_mov_b32_e32 v78, v42
	v_pk_fma_f32 v[40:41], v[40:41], v[94:95], v[74:75] op_sel:[0,0,1] op_sel_hi:[1,1,0]
	v_pk_mul_f32 v[22:23], v[22:23], v[36:37]
	v_pk_fma_f32 v[36:37], v[42:43], v[86:87], v[14:15]
	v_pk_add_f32 v[42:43], v[90:91], v[70:71] neg_lo:[0,1] neg_hi:[0,1]
	v_pk_add_f32 v[16:17], v[32:33], v[16:17] neg_lo:[0,1] neg_hi:[0,1]
	v_pk_add_f32 v[34:35], v[34:35], v[66:67]
	v_pk_add_f32 v[74:75], v[28:29], v[24:25]
	v_pk_add_f32 v[68:69], v[72:73], v[68:69] neg_lo:[0,1] neg_hi:[0,1]
	v_mov_b32_e32 v70, v16
	v_mov_b32_e32 v71, v43
	;; [unrolled: 1-line block ×6, first 2 shown]
	v_pk_add_f32 v[70:71], v[70:71], v[68:69] neg_lo:[0,1] neg_hi:[0,1]
	v_pk_add_f32 v[66:67], v[66:67], v[28:29] neg_lo:[0,1] neg_hi:[0,1]
	v_mov_b32_e32 v25, v75
	v_pk_add_f32 v[74:75], v[74:75], v[34:35]
	v_mov_b32_e32 v35, v64
	v_pk_add_f32 v[32:33], v[32:33], v[16:17] neg_lo:[0,1] neg_hi:[0,1]
	v_pk_mul_f32 v[70:71], v[70:71], s[12:13]
	v_pk_add_f32 v[72:73], v[68:69], v[16:17]
	v_pk_add_f32 v[34:35], v[24:25], v[34:35] neg_lo:[0,1] neg_hi:[0,1]
	v_pk_add_f32 v[60:61], v[74:75], v[60:61]
	v_pk_mul_f32 v[66:67], v[66:67], s[14:15]
	v_mov_b32_e32 v82, v76
	v_pk_fma_f32 v[14:15], v[78:79], v[86:87], v[14:15] neg_lo:[0,0,1] neg_hi:[0,0,1]
	v_pk_fma_f32 v[38:39], v[80:81], v[76:77], v[22:23]
	v_pk_add_f32 v[72:73], v[72:73], v[42:43]
	v_pk_fma_f32 v[74:75], v[74:75], s[22:23], v[60:61] op_sel_hi:[1,0,1] neg_lo:[1,0,0] neg_hi:[1,0,0]
	v_pk_fma_f32 v[76:77], v[34:35], s[16:17], v[66:67]
	v_pk_fma_f32 v[78:79], v[32:33], s[10:11], v[70:71]
	v_mov_b32_e32 v69, v17
	v_pk_mul_f32 v[32:33], v[32:33], s[10:11]
	v_pk_mul_f32 v[34:35], v[34:35], s[16:17]
	v_mov_b32_e32 v29, v64
	v_mov_b32_e32 v25, v18
	v_pk_add_f32 v[76:77], v[76:77], v[74:75]
	v_pk_fma_f32 v[78:79], v[72:73], s[8:9], v[78:79] op_sel_hi:[1,0,1]
	v_pk_add_f32 v[42:43], v[68:69], v[42:43] neg_lo:[0,1] neg_hi:[0,1]
	v_pk_add_f32 v[18:19], v[28:29], v[24:25] neg_lo:[0,1] neg_hi:[0,1]
	v_mov_b32_e32 v24, v34
	v_mov_b32_e32 v25, v67
	;; [unrolled: 1-line block ×6, first 2 shown]
	v_pk_fma_f32 v[22:23], v[80:81], v[82:83], v[22:23] neg_lo:[0,0,1] neg_hi:[0,0,1]
	v_pk_add_f32 v[80:81], v[76:77], v[78:79]
	v_pk_add_f32 v[76:77], v[76:77], v[78:79] neg_lo:[0,1] neg_hi:[0,1]
	v_pk_fma_f32 v[24:25], v[18:19], s[20:21], v[24:25] op_sel_hi:[1,0,1] neg_lo:[1,0,1] neg_hi:[1,0,1]
	v_pk_fma_f32 v[28:29], v[42:43], s[18:19], v[28:29] op_sel_hi:[1,0,1] neg_lo:[1,0,1] neg_hi:[1,0,1]
	;; [unrolled: 1-line block ×4, first 2 shown]
	v_mov_b32_e32 v78, v80
	v_mov_b32_e32 v79, v77
	;; [unrolled: 1-line block ×9, first 2 shown]
	v_pk_add_f32 v[24:25], v[24:25], v[74:75]
	v_pk_fma_f32 v[28:29], v[72:73], s[8:9], v[28:29] op_sel_hi:[1,0,1]
	v_pk_add_f32 v[18:19], v[18:19], v[74:75]
	v_pk_fma_f32 v[32:33], v[72:73], s[8:9], v[32:33] op_sel_hi:[1,0,1]
	ds_write2_b64 v51, v[60:61], v[78:79] offset1:16
	v_pk_add_f32 v[60:61], v[40:41], v[20:21]
	v_pk_add_f32 v[20:21], v[40:41], v[20:21] neg_lo:[0,1] neg_hi:[0,1]
	v_pk_add_f32 v[40:41], v[36:37], v[38:39]
	v_pk_add_f32 v[26:27], v[92:93], v[94:95]
	;; [unrolled: 1-line block ×4, first 2 shown]
	v_pk_add_f32 v[24:25], v[24:25], v[28:29] neg_lo:[0,1] neg_hi:[0,1]
	v_pk_add_f32 v[42:43], v[18:19], v[32:33] neg_lo:[0,1] neg_hi:[0,1]
	v_pk_add_f32 v[18:19], v[18:19], v[32:33]
	v_pk_add_f32 v[36:37], v[36:37], v[38:39] neg_lo:[0,1] neg_hi:[0,1]
	v_mov_b32_e32 v39, v96
	v_mov_b32_e32 v38, v27
	;; [unrolled: 1-line block ×12, first 2 shown]
	v_pk_add_f32 v[12:13], v[38:39], v[12:13] neg_lo:[0,1] neg_hi:[0,1]
	ds_write2_b64 v51, v[18:19], v[24:25] offset0:64 offset1:80
	v_pk_add_f32 v[18:19], v[30:31], v[26:27]
	v_pk_add_f32 v[14:15], v[22:23], v[14:15]
	v_mov_b32_e32 v38, v20
	v_mov_b32_e32 v39, v37
	v_mov_b32_e32 v68, v12
	v_mov_b32_e32 v69, v21
	v_mov_b32_e32 v22, v14
	v_mov_b32_e32 v23, v60
	v_mov_b32_e32 v31, v19
	v_mov_b32_e32 v27, v19
	v_mov_b32_e32 v24, v14
	v_mov_b32_e32 v25, v40
	v_pk_add_f32 v[38:39], v[38:39], v[12:13] neg_lo:[0,1] neg_hi:[0,1]
	v_pk_add_f32 v[68:69], v[68:69], v[36:37] neg_lo:[0,1] neg_hi:[0,1]
	v_mov_b32_e32 v34, v64
	v_mov_b32_e32 v32, v42
	v_pk_add_f32 v[22:23], v[22:23], v[30:31] neg_lo:[0,1] neg_hi:[0,1]
	v_pk_add_f32 v[24:25], v[26:27], v[24:25] neg_lo:[0,1] neg_hi:[0,1]
	v_pk_mul_f32 v[16:17], v[38:39], s[10:11]
	v_pk_mul_f32 v[68:69], v[68:69], s[12:13]
	v_pk_add_f32 v[28:29], v[36:37], v[12:13]
	ds_write2_b64 v51, v[34:35], v[32:33] offset0:32 offset1:48
	v_pk_add_f32 v[14:15], v[18:19], v[14:15]
	v_pk_mul_f32 v[22:23], v[22:23], s[14:15]
	v_pk_mul_f32 v[32:33], v[24:25], s[16:17]
	v_mov_b32_e32 v37, v13
	v_mov_b32_e32 v31, v40
	v_mov_b32_e32 v27, v60
	v_pk_add_f32 v[28:29], v[28:29], v[20:21]
	v_pk_add_f32 v[18:19], v[14:15], v[58:59]
	v_pk_add_f32 v[12:13], v[36:37], v[20:21] neg_lo:[0,1] neg_hi:[0,1]
	v_pk_add_f32 v[20:21], v[30:31], v[26:27] neg_lo:[0,1] neg_hi:[0,1]
	v_mov_b32_e32 v26, v32
	v_mov_b32_e32 v27, v23
	;; [unrolled: 1-line block ×4, first 2 shown]
	v_pk_fma_f32 v[14:15], v[14:15], s[22:23], v[18:19] op_sel_hi:[1,0,1] neg_lo:[1,0,0] neg_hi:[1,0,0]
	v_pk_fma_f32 v[24:25], v[24:25], s[16:17], v[22:23]
	v_pk_fma_f32 v[34:35], v[38:39], s[10:11], v[68:69]
	v_pk_fma_f32 v[26:27], v[20:21], s[20:21], v[26:27] op_sel_hi:[1,0,1] neg_lo:[1,0,1] neg_hi:[1,0,1]
	v_pk_fma_f32 v[30:31], v[12:13], s[18:19], v[30:31] op_sel_hi:[1,0,1] neg_lo:[1,0,1] neg_hi:[1,0,1]
	v_pk_add_f32 v[24:25], v[24:25], v[14:15]
	v_pk_fma_f32 v[34:35], v[28:29], s[8:9], v[34:35] op_sel_hi:[1,0,1]
	v_pk_add_f32 v[26:27], v[26:27], v[14:15]
	v_pk_fma_f32 v[30:31], v[28:29], s[8:9], v[30:31] op_sel_hi:[1,0,1]
	v_lshlrev_b32_e32 v1, 3, v46
	v_mov_b32_e32 v77, v81
	v_pk_add_f32 v[38:39], v[24:25], v[34:35]
	v_pk_add_f32 v[24:25], v[24:25], v[34:35] neg_lo:[0,1] neg_hi:[0,1]
	v_pk_add_f32 v[34:35], v[26:27], v[30:31]
	v_pk_add_f32 v[26:27], v[26:27], v[30:31] neg_lo:[0,1] neg_hi:[0,1]
	v_add3_u32 v1, 0, v1, v53
	ds_write_b64 v51, v[76:77] offset:768
	ds_write_b64 v63, v[18:19]
	v_mov_b32_e32 v18, v38
	v_mov_b32_e32 v19, v25
	;; [unrolled: 1-line block ×6, first 2 shown]
	ds_write2_b64 v1, v[18:19], v[30:31] offset0:16 offset1:32
	v_pk_fma_f32 v[18:19], v[20:21], s[20:21], v[22:23] op_sel_hi:[1,0,1] neg_lo:[0,0,1] neg_hi:[0,0,1]
	v_pk_fma_f32 v[12:13], v[12:13], s[18:19], v[68:69] op_sel_hi:[1,0,1] neg_lo:[0,0,1] neg_hi:[0,0,1]
	v_pk_add_f32 v[14:15], v[18:19], v[14:15]
	v_pk_fma_f32 v[12:13], v[28:29], s[8:9], v[12:13] op_sel_hi:[1,0,1]
	v_mov_b32_e32 v27, v35
	v_pk_add_f32 v[16:17], v[14:15], v[12:13] neg_lo:[0,1] neg_hi:[0,1]
	v_pk_add_f32 v[12:13], v[14:15], v[12:13]
	v_mov_b32_e32 v14, v16
	v_mov_b32_e32 v15, v13
	;; [unrolled: 1-line block ×4, first 2 shown]
	ds_write2_b64 v1, v[14:15], v[12:13] offset0:48 offset1:64
	ds_write2_b64 v1, v[26:27], v[24:25] offset0:80 offset1:96
	s_and_saveexec_b64 s[22:23], s[2:3]
	s_cbranch_execz .LBB0_8
; %bb.7:
	v_and_b32_e32 v1, 15, v50
	v_mul_u32_u24_e32 v1, 6, v1
	v_lshlrev_b32_e32 v1, 3, v1
	global_load_dwordx4 v[12:15], v1, s[6:7] offset:96
	global_load_dwordx4 v[16:19], v1, s[6:7] offset:128
	;; [unrolled: 1-line block ×3, first 2 shown]
	v_mov_b32_e32 v24, v8
	v_mov_b32_e32 v25, v5
	;; [unrolled: 1-line block ×12, first 2 shown]
	s_mov_b32 s2, 0xbf955555
	s_waitcnt vmcnt(2)
	v_mov_b32_e32 v42, v15
	s_waitcnt vmcnt(1)
	v_mov_b32_e32 v58, v17
	s_waitcnt vmcnt(0)
	v_mov_b32_e32 v43, v23
	v_mov_b32_e32 v59, v21
	v_pk_mul_f32 v[0:1], v[0:1], v[12:13] op_sel_hi:[0,1]
	v_pk_mul_f32 v[10:11], v[10:11], v[18:19] op_sel_hi:[0,1]
	v_mov_b32_e32 v40, v14
	v_mov_b32_e32 v41, v22
	;; [unrolled: 1-line block ×4, first 2 shown]
	v_mul_f32_e32 v27, v3, v15
	v_mul_f32_e32 v33, v9, v17
	;; [unrolled: 1-line block ×6, first 2 shown]
	v_pk_mul_f32 v[20:21], v[30:31], v[42:43]
	v_pk_mul_f32 v[22:23], v[24:25], v[58:59]
	v_fma_f32 v4, v2, v14, -v27
	v_fma_f32 v2, v8, v16, -v33
	v_pk_fma_f32 v[24:25], v[38:39], v[18:19], v[10:11] op_sel:[0,0,1] op_sel_hi:[0,1,0]
	v_pk_fma_f32 v[10:11], v[38:39], v[18:19], v[10:11] op_sel:[0,0,1] op_sel_hi:[0,1,0] neg_lo:[1,0,0] neg_hi:[1,0,0]
	v_pk_fma_f32 v[18:19], v[36:37], v[12:13], v[0:1] op_sel:[0,0,1] op_sel_hi:[0,1,0]
	v_pk_fma_f32 v[0:1], v[36:37], v[12:13], v[0:1] op_sel:[0,0,1] op_sel_hi:[0,1,0] neg_lo:[1,0,0] neg_hi:[1,0,0]
	v_pk_fma_f32 v[16:17], v[26:27], v[16:17], v[22:23]
	v_pk_fma_f32 v[22:23], v[28:29], v[56:57], v[22:23] neg_lo:[0,0,1] neg_hi:[0,0,1]
	v_pk_fma_f32 v[14:15], v[32:33], v[14:15], v[20:21]
	v_pk_fma_f32 v[20:21], v[34:35], v[40:41], v[20:21] neg_lo:[0,0,1] neg_hi:[0,0,1]
	v_mov_b32_e32 v25, v11
	v_mov_b32_e32 v19, v1
	;; [unrolled: 1-line block ×4, first 2 shown]
	v_pk_add_f32 v[12:13], v[4:5], v[2:3]
	v_mov_b32_e32 v6, v1
	v_mov_b32_e32 v8, v11
	;; [unrolled: 1-line block ×3, first 2 shown]
	v_pk_add_f32 v[4:5], v[18:19], v[24:25]
	v_pk_add_f32 v[10:11], v[18:19], v[24:25] neg_lo:[0,1] neg_hi:[0,1]
	v_mov_b32_e32 v18, v21
	v_pk_add_f32 v[20:21], v[14:15], v[16:17]
	v_pk_add_f32 v[6:7], v[6:7], v[8:9]
	v_mov_b32_e32 v8, v23
	v_mov_b32_e32 v19, v4
	;; [unrolled: 1-line block ×3, first 2 shown]
	v_pk_add_f32 v[24:25], v[12:13], v[6:7]
	v_pk_add_f32 v[8:9], v[8:9], v[18:19]
	v_mov_b32_e32 v3, v2
	v_mov_b32_e32 v2, v13
	;; [unrolled: 1-line block ×5, first 2 shown]
	v_pk_add_f32 v[24:25], v[24:25], v[8:9]
	v_mov_b32_e32 v9, v20
	v_pk_add_f32 v[14:15], v[14:15], v[16:17] neg_lo:[0,1] neg_hi:[0,1]
	v_pk_add_f32 v[0:1], v[0:1], v[2:3] neg_lo:[0,1] neg_hi:[0,1]
	;; [unrolled: 1-line block ×3, first 2 shown]
	v_mov_b32_e32 v9, v4
	v_mov_b32_e32 v17, v11
	;; [unrolled: 1-line block ×5, first 2 shown]
	v_pk_add_f32 v[8:9], v[8:9], v[12:13] neg_lo:[0,1] neg_hi:[0,1]
	v_pk_add_f32 v[2:3], v[14:15], v[0:1]
	v_pk_add_f32 v[22:23], v[22:23], v[0:1] neg_lo:[0,1] neg_hi:[0,1]
	v_pk_add_f32 v[16:17], v[16:17], v[14:15] neg_lo:[0,1] neg_hi:[0,1]
	v_pk_mul_f32 v[30:31], v[28:29], s[16:17]
	v_pk_mul_f32 v[8:9], v[8:9], s[14:15]
	v_mov_b32_e32 v15, v1
	v_mov_b32_e32 v13, v20
	;; [unrolled: 1-line block ×3, first 2 shown]
	v_pk_add_f32 v[2:3], v[2:3], v[10:11]
	v_pk_mul_f32 v[18:19], v[22:23], s[10:11]
	v_pk_mul_f32 v[16:17], v[16:17], s[12:13]
	v_pk_add_f32 v[0:1], v[14:15], v[10:11] neg_lo:[0,1] neg_hi:[0,1]
	v_mov_b32_e32 v10, v30
	v_mov_b32_e32 v11, v9
	v_pk_add_f32 v[4:5], v[12:13], v[6:7] neg_lo:[0,1] neg_hi:[0,1]
	v_pk_fma_f32 v[22:23], v[22:23], s[10:11], v[16:17]
	v_pk_fma_f32 v[6:7], v[4:5], s[20:21], v[10:11] op_sel_hi:[1,0,1] neg_lo:[1,0,1] neg_hi:[1,0,1]
	v_mov_b32_e32 v10, v18
	v_mov_b32_e32 v11, v17
	;; [unrolled: 1-line block ×3, first 2 shown]
	v_pk_add_f32 v[26:27], v[54:55], v[24:25]
	v_pk_fma_f32 v[28:29], v[28:29], s[16:17], v[8:9]
	v_pk_fma_f32 v[10:11], v[0:1], s[18:19], v[10:11] op_sel_hi:[1,0,1] neg_lo:[1,0,1] neg_hi:[1,0,1]
	v_pk_fma_f32 v[0:1], v[0:1], s[18:19], v[16:17] op_sel_hi:[1,0,1] neg_lo:[0,0,1] neg_hi:[0,0,1]
	v_mov_b32_e32 v9, v31
	v_pk_fma_f32 v[24:25], v[24:25], s[2:3], v[26:27] op_sel_hi:[1,0,1]
	v_pk_fma_f32 v[22:23], v[2:3], s[8:9], v[22:23] op_sel_hi:[1,0,1]
	;; [unrolled: 1-line block ×4, first 2 shown]
	v_pk_fma_f32 v[2:3], v[4:5], s[20:21], v[8:9] op_sel_hi:[1,0,1] neg_lo:[0,0,1] neg_hi:[0,0,1]
	v_pk_add_f32 v[28:29], v[28:29], v[24:25]
	v_pk_add_f32 v[6:7], v[6:7], v[24:25]
	;; [unrolled: 1-line block ×4, first 2 shown]
	v_pk_add_f32 v[22:23], v[28:29], v[22:23] neg_lo:[0,1] neg_hi:[0,1]
	v_pk_add_f32 v[12:13], v[6:7], v[10:11]
	v_pk_add_f32 v[6:7], v[6:7], v[10:11] neg_lo:[0,1] neg_hi:[0,1]
	v_pk_add_f32 v[4:5], v[2:3], v[0:1] neg_lo:[0,1] neg_hi:[0,1]
	v_pk_add_f32 v[0:1], v[2:3], v[0:1]
	v_mov_b32_e32 v28, v32
	v_mov_b32_e32 v29, v23
	;; [unrolled: 1-line block ×9, first 2 shown]
	ds_write2_b64 v51, v[26:27], v[28:29] offset0:14 offset1:30
	ds_write2_b64 v51, v[10:11], v[2:3] offset0:46 offset1:62
	;; [unrolled: 1-line block ×3, first 2 shown]
	ds_write_b64 v51, v[22:23] offset:880
.LBB0_8:
	s_or_b64 exec, exec, s[22:23]
	s_waitcnt lgkmcnt(0)
	s_barrier
	ds_read_b64 v[4:5], v62
	v_sub_u32_e32 v6, v49, v47
	v_cmp_ne_u16_e64 s[2:3], 0, v45
                                        ; implicit-def: $vgpr1
                                        ; implicit-def: $vgpr2_vgpr3
	s_and_saveexec_b64 s[8:9], s[2:3]
	s_xor_b64 s[2:3], exec, s[8:9]
	s_cbranch_execz .LBB0_10
; %bb.9:
	v_mov_b32_e32 v0, 3
	v_lshlrev_b32_sdwa v0, v0, v45 dst_sel:DWORD dst_unused:UNUSED_PAD src0_sel:DWORD src1_sel:WORD_0
	global_load_dwordx2 v[2:3], v0, s[6:7] offset:864
	ds_read_b64 v[0:1], v6 offset:896
	v_mov_b32_e32 v9, 0.5
	v_mov_b32_e32 v10, v9
	s_waitcnt lgkmcnt(0)
	v_pk_add_f32 v[12:13], v[0:1], v[4:5]
	v_pk_add_f32 v[0:1], v[4:5], v[0:1] neg_lo:[0,1] neg_hi:[0,1]
	v_mov_b32_e32 v4, v13
	v_mov_b32_e32 v5, v0
	v_pk_mul_f32 v[4:5], v[4:5], 0.5 op_sel_hi:[1,0]
	s_waitcnt vmcnt(0)
	v_mov_b32_e32 v8, v3
	v_mov_b32_e32 v0, v5
	;; [unrolled: 1-line block ×4, first 2 shown]
	v_pk_mul_f32 v[0:1], v[8:9], v[0:1]
	v_pk_mul_f32 v[14:15], v[2:3], v[4:5] op_sel_hi:[0,1]
	v_pk_fma_f32 v[8:9], v[12:13], v[10:11], v[0:1]
	v_pk_fma_f32 v[10:11], v[12:13], v[10:11], v[0:1] neg_lo:[0,0,1] neg_hi:[0,0,1]
	v_pk_fma_f32 v[0:1], v[2:3], v[4:5], v[8:9] op_sel_hi:[0,1,1] neg_lo:[1,0,0] neg_hi:[1,0,0]
	v_pk_fma_f32 v[2:3], v[2:3], v[4:5], v[10:11] op_sel_hi:[0,1,1] neg_lo:[1,0,0] neg_hi:[1,0,0]
	v_add_f32_e32 v0, v8, v14
                                        ; implicit-def: $vgpr4_vgpr5
.LBB0_10:
	s_andn2_saveexec_b64 s[2:3], s[2:3]
	s_cbranch_execz .LBB0_12
; %bb.11:
	ds_read_b32 v1, v49 offset:452
	s_waitcnt lgkmcnt(1)
	v_mov_b32_e32 v2, v5
	v_pk_add_f32 v[2:3], v[4:5], v[2:3] neg_lo:[0,1] neg_hi:[0,1]
	v_add_f32_e32 v0, v5, v4
	v_mov_b32_e32 v3, 0
	s_waitcnt lgkmcnt(0)
	v_xor_b32_e32 v1, 0x80000000, v1
	ds_write_b32 v49, v1 offset:452
	v_mov_b32_e32 v1, v3
.LBB0_12:
	s_or_b64 exec, exec, s[2:3]
	v_mov_b32_e32 v47, 0
	s_waitcnt lgkmcnt(0)
	v_lshl_add_u64 v[4:5], v[46:47], 3, s[6:7]
	global_load_dwordx2 v[4:5], v[4:5], off offset:864
	v_mov_b32_e32 v51, v47
	v_lshl_add_u64 v[8:9], v[50:51], 3, s[6:7]
	global_load_dwordx2 v[8:9], v[8:9], off offset:864
	v_mov_b32_e32 v53, v47
	v_lshl_add_u64 v[10:11], v[52:53], 3, s[6:7]
	global_load_dwordx2 v[10:11], v[10:11], off offset:864
	ds_write_b64 v62, v[0:1]
	ds_write_b64 v6, v[2:3] offset:896
	v_lshl_add_u32 v7, v46, 3, v49
	s_add_u32 s2, s6, 0x360
	ds_read_b64 v[0:1], v7
	ds_read_b64 v[2:3], v6 offset:840
	s_addc_u32 s3, s7, 0
	v_mov_b32_e32 v45, v47
	v_lshl_add_u64 v[12:13], v[44:45], 3, s[2:3]
	global_load_dwordx2 v[14:15], v[12:13], off offset:224
	s_waitcnt lgkmcnt(0)
	v_pk_add_f32 v[20:21], v[0:1], v[2:3]
	v_pk_add_f32 v[0:1], v[0:1], v[2:3] neg_lo:[0,1] neg_hi:[0,1]
	v_mov_b32_e32 v2, v21
	v_mov_b32_e32 v3, v0
	v_mov_b32_e32 v17, 0.5
	v_pk_mul_f32 v[2:3], v[2:3], 0.5 op_sel_hi:[1,0]
	v_mov_b32_e32 v18, v17
	v_mov_b32_e32 v21, v2
	;; [unrolled: 1-line block ×3, first 2 shown]
	v_lshl_add_u32 v22, v50, 3, v49
	v_lshl_add_u32 v23, v52, 3, v49
	s_waitcnt vmcnt(3)
	v_mov_b32_e32 v19, v5
	v_mov_b32_e32 v16, v5
	v_pk_mul_f32 v[18:19], v[20:21], v[18:19]
	s_nop 0
	v_pk_fma_f32 v[20:21], v[16:17], v[0:1], v[18:19] neg_lo:[1,0,0] neg_hi:[1,0,0]
	v_pk_fma_f32 v[0:1], v[16:17], v[0:1], v[18:19]
	v_pk_fma_f32 v[18:19], v[4:5], v[2:3], v[20:21] op_sel_hi:[0,1,1] neg_lo:[1,0,0] neg_hi:[1,0,0]
	v_pk_fma_f32 v[20:21], v[4:5], v[2:3], v[0:1] op_sel_hi:[0,1,1]
	v_pk_fma_f32 v[0:1], v[4:5], v[2:3], v[0:1] op_sel_hi:[0,1,1] neg_lo:[1,0,0] neg_hi:[1,0,0]
	v_mov_b32_e32 v21, v1
	ds_write_b64 v7, v[20:21]
	ds_write_b64 v6, v[18:19] offset:840
	ds_read_b64 v[0:1], v22
	ds_read_b64 v[2:3], v6 offset:784
	global_load_dwordx2 v[18:19], v[12:13], off offset:280
	v_mov_b32_e32 v4, v17
	s_waitcnt vmcnt(3)
	v_mov_b32_e32 v5, v9
	v_mov_b32_e32 v16, v9
	s_waitcnt lgkmcnt(0)
	v_pk_add_f32 v[20:21], v[0:1], v[2:3]
	v_pk_add_f32 v[0:1], v[0:1], v[2:3] neg_lo:[0,1] neg_hi:[0,1]
	v_mov_b32_e32 v2, v21
	v_mov_b32_e32 v3, v0
	v_pk_mul_f32 v[2:3], v[2:3], 0.5 op_sel_hi:[1,0]
	v_xor_b32_e32 v7, 63, v44
	v_mov_b32_e32 v21, v2
	v_mov_b32_e32 v0, v3
	v_pk_mul_f32 v[4:5], v[20:21], v[4:5]
	s_nop 0
	v_pk_fma_f32 v[20:21], v[16:17], v[0:1], v[4:5] neg_lo:[1,0,0] neg_hi:[1,0,0]
	v_pk_fma_f32 v[0:1], v[16:17], v[0:1], v[4:5]
	v_pk_fma_f32 v[4:5], v[8:9], v[2:3], v[20:21] op_sel_hi:[0,1,1] neg_lo:[1,0,0] neg_hi:[1,0,0]
	v_pk_fma_f32 v[20:21], v[8:9], v[2:3], v[0:1] op_sel_hi:[0,1,1]
	v_pk_fma_f32 v[0:1], v[8:9], v[2:3], v[0:1] op_sel_hi:[0,1,1] neg_lo:[1,0,0] neg_hi:[1,0,0]
	v_mov_b32_e32 v21, v1
	ds_write_b64 v22, v[20:21]
	ds_write_b64 v6, v[4:5] offset:784
	ds_read_b64 v[0:1], v23
	ds_read_b64 v[2:3], v6 offset:728
	global_load_dwordx2 v[8:9], v[12:13], off offset:336
	v_mov_b32_e32 v4, v17
	s_waitcnt vmcnt(3)
	v_mov_b32_e32 v5, v11
	v_mov_b32_e32 v16, v11
	s_waitcnt lgkmcnt(0)
	v_pk_add_f32 v[20:21], v[0:1], v[2:3]
	v_pk_add_f32 v[0:1], v[0:1], v[2:3] neg_lo:[0,1] neg_hi:[0,1]
	v_mov_b32_e32 v2, v21
	v_mov_b32_e32 v3, v0
	v_pk_mul_f32 v[2:3], v[2:3], 0.5 op_sel_hi:[1,0]
	s_nop 0
	v_mov_b32_e32 v21, v2
	v_mov_b32_e32 v0, v3
	v_pk_mul_f32 v[4:5], v[20:21], v[4:5]
	s_nop 0
	v_pk_fma_f32 v[20:21], v[16:17], v[0:1], v[4:5] neg_lo:[1,0,0] neg_hi:[1,0,0]
	v_pk_fma_f32 v[0:1], v[16:17], v[0:1], v[4:5]
	v_pk_fma_f32 v[4:5], v[10:11], v[2:3], v[20:21] op_sel_hi:[0,1,1] neg_lo:[1,0,0] neg_hi:[1,0,0]
	v_pk_fma_f32 v[20:21], v[10:11], v[2:3], v[0:1] op_sel_hi:[0,1,1]
	v_pk_fma_f32 v[0:1], v[10:11], v[2:3], v[0:1] op_sel_hi:[0,1,1] neg_lo:[1,0,0] neg_hi:[1,0,0]
	v_mov_b32_e32 v21, v1
	ds_write_b64 v23, v[20:21]
	ds_write_b64 v6, v[4:5] offset:728
	ds_read_b64 v[0:1], v62 offset:224
	ds_read_b64 v[2:3], v6 offset:672
	global_load_dwordx2 v[4:5], v[12:13], off offset:392
	s_waitcnt lgkmcnt(0)
	v_pk_add_f32 v[10:11], v[0:1], v[2:3] neg_lo:[0,1] neg_hi:[0,1]
	v_pk_add_f32 v[0:1], v[0:1], v[2:3]
	v_mov_b32_e32 v2, v10
	v_mov_b32_e32 v3, v1
	v_pk_mul_f32 v[2:3], v[2:3], 0.5 op_sel_hi:[1,0]
	v_mov_b32_e32 v1, v11
	s_waitcnt vmcnt(3)
	v_pk_mul_f32 v[12:13], v[14:15], v[2:3] op_sel:[1,0]
	v_pk_mul_f32 v[10:11], v[0:1], 0.5 op_sel_hi:[1,0]
	v_pk_mul_f32 v[2:3], v[14:15], v[2:3] op_sel_hi:[0,1]
	v_pk_fma_f32 v[0:1], v[0:1], 0.5, v[12:13] op_sel_hi:[1,0,1]
	v_mov_b32_e32 v14, v10
	v_mov_b32_e32 v15, v13
	;; [unrolled: 1-line block ×3, first 2 shown]
	v_pk_add_f32 v[10:11], v[0:1], v[2:3] op_sel:[0,1] op_sel_hi:[1,0]
	v_pk_add_f32 v[0:1], v[0:1], v[2:3] op_sel:[0,1] op_sel_hi:[1,0] neg_lo:[0,1] neg_hi:[0,1]
	v_pk_add_f32 v[12:13], v[14:15], v[12:13] neg_lo:[0,1] neg_hi:[0,1]
	v_mov_b32_e32 v11, v1
	v_pk_add_f32 v[0:1], v[12:13], v[2:3] op_sel:[0,1] op_sel_hi:[1,0] neg_lo:[0,1] neg_hi:[0,1]
	ds_write_b64 v62, v[10:11] offset:224
	ds_write_b64 v6, v[0:1] offset:672
	ds_read_b64 v[0:1], v62 offset:280
	ds_read_b64 v[2:3], v6 offset:616
	s_waitcnt lgkmcnt(0)
	v_pk_add_f32 v[10:11], v[0:1], v[2:3] neg_lo:[0,1] neg_hi:[0,1]
	v_pk_add_f32 v[0:1], v[0:1], v[2:3]
	v_mov_b32_e32 v2, v10
	v_mov_b32_e32 v3, v1
	v_pk_mul_f32 v[2:3], v[2:3], 0.5 op_sel_hi:[1,0]
	v_mov_b32_e32 v1, v11
	v_pk_mul_f32 v[10:11], v[0:1], 0.5 op_sel_hi:[1,0]
	s_waitcnt vmcnt(2)
	v_pk_mul_f32 v[12:13], v[18:19], v[2:3] op_sel:[1,0]
	v_pk_mul_f32 v[2:3], v[18:19], v[2:3] op_sel_hi:[0,1]
	v_pk_fma_f32 v[0:1], v[0:1], 0.5, v[12:13] op_sel_hi:[1,0,1]
	v_mov_b32_e32 v14, v10
	v_mov_b32_e32 v15, v13
	v_mov_b32_e32 v13, v11
	v_pk_add_f32 v[10:11], v[0:1], v[2:3] op_sel:[0,1] op_sel_hi:[1,0]
	v_pk_add_f32 v[0:1], v[0:1], v[2:3] op_sel:[0,1] op_sel_hi:[1,0] neg_lo:[0,1] neg_hi:[0,1]
	v_pk_add_f32 v[12:13], v[14:15], v[12:13] neg_lo:[0,1] neg_hi:[0,1]
	v_mov_b32_e32 v11, v1
	v_pk_add_f32 v[0:1], v[12:13], v[2:3] op_sel:[0,1] op_sel_hi:[1,0] neg_lo:[0,1] neg_hi:[0,1]
	ds_write_b64 v62, v[10:11] offset:280
	ds_write_b64 v6, v[0:1] offset:616
	ds_read_b64 v[0:1], v62 offset:336
	ds_read_b64 v[2:3], v6 offset:560
	v_lshl_add_u32 v14, v7, 3, v49
	s_waitcnt lgkmcnt(0)
	v_pk_add_f32 v[10:11], v[0:1], v[2:3] neg_lo:[0,1] neg_hi:[0,1]
	v_pk_add_f32 v[0:1], v[0:1], v[2:3]
	v_mov_b32_e32 v2, v10
	v_mov_b32_e32 v3, v1
	v_pk_mul_f32 v[2:3], v[2:3], 0.5 op_sel_hi:[1,0]
	v_mov_b32_e32 v1, v11
	s_waitcnt vmcnt(1)
	v_pk_mul_f32 v[12:13], v[8:9], v[2:3] op_sel:[1,0]
	v_pk_mul_f32 v[10:11], v[0:1], 0.5 op_sel_hi:[1,0]
	v_pk_mul_f32 v[2:3], v[8:9], v[2:3] op_sel_hi:[0,1]
	v_pk_fma_f32 v[0:1], v[0:1], 0.5, v[12:13] op_sel_hi:[1,0,1]
	v_mov_b32_e32 v8, v10
	v_mov_b32_e32 v9, v13
	;; [unrolled: 1-line block ×3, first 2 shown]
	v_pk_add_f32 v[10:11], v[0:1], v[2:3] op_sel:[0,1] op_sel_hi:[1,0]
	v_pk_add_f32 v[0:1], v[0:1], v[2:3] op_sel:[0,1] op_sel_hi:[1,0] neg_lo:[0,1] neg_hi:[0,1]
	v_pk_add_f32 v[8:9], v[8:9], v[12:13] neg_lo:[0,1] neg_hi:[0,1]
	v_mov_b32_e32 v11, v1
	v_pk_add_f32 v[0:1], v[8:9], v[2:3] op_sel:[0,1] op_sel_hi:[1,0] neg_lo:[0,1] neg_hi:[0,1]
	ds_write_b64 v62, v[10:11] offset:336
	ds_write_b64 v6, v[0:1] offset:560
	ds_read_b64 v[0:1], v62 offset:392
	ds_read_b64 v[2:3], v14
	v_mov_b32_e32 v8, v17
	s_waitcnt lgkmcnt(0)
	v_pk_add_f32 v[6:7], v[0:1], v[2:3]
	v_pk_add_f32 v[0:1], v[0:1], v[2:3] neg_lo:[0,1] neg_hi:[0,1]
	v_mov_b32_e32 v2, v7
	v_mov_b32_e32 v3, v0
	v_pk_mul_f32 v[2:3], v[2:3], 0.5 op_sel_hi:[1,0]
	s_waitcnt vmcnt(0)
	v_mov_b32_e32 v9, v5
	v_mov_b32_e32 v7, v2
	;; [unrolled: 1-line block ×4, first 2 shown]
	v_pk_mul_f32 v[6:7], v[6:7], v[8:9]
	s_nop 0
	v_pk_fma_f32 v[8:9], v[16:17], v[0:1], v[6:7] neg_lo:[1,0,0] neg_hi:[1,0,0]
	v_pk_fma_f32 v[0:1], v[16:17], v[0:1], v[6:7]
	v_pk_fma_f32 v[8:9], v[4:5], v[2:3], v[8:9] op_sel_hi:[0,1,1] neg_lo:[1,0,0] neg_hi:[1,0,0]
	v_pk_fma_f32 v[6:7], v[4:5], v[2:3], v[0:1] op_sel_hi:[0,1,1]
	v_pk_fma_f32 v[0:1], v[4:5], v[2:3], v[0:1] op_sel_hi:[0,1,1] neg_lo:[1,0,0] neg_hi:[1,0,0]
	v_mov_b32_e32 v7, v1
	ds_write_b64 v62, v[6:7] offset:392
	ds_write_b64 v14, v[8:9]
	s_waitcnt lgkmcnt(0)
	s_barrier
	s_and_saveexec_b64 s[2:3], vcc
	s_cbranch_execz .LBB0_15
; %bb.13:
	v_mad_u64_u32 v[0:1], s[2:3], s4, v48, 0
	s_load_dwordx2 s[0:1], s[0:1], 0x58
	v_mov_b32_e32 v2, v1
	v_mad_u64_u32 v[8:9], s[2:3], s5, v48, v[2:3]
	v_lshl_add_u32 v2, v44, 3, v49
	ds_read2_b64 v[4:7], v2 offset1:7
	v_mov_b32_e32 v1, v8
	v_mov_b32_e32 v45, v47
	s_waitcnt lgkmcnt(0)
	v_lshl_add_u64 v[0:1], v[0:1], 3, s[0:1]
	v_lshl_add_u64 v[8:9], v[44:45], 3, v[0:1]
	global_store_dwordx2 v[8:9], v[4:5], off
	ds_read2_b64 v[8:11], v2 offset0:14 offset1:21
	v_add_u32_e32 v46, 7, v44
	v_lshl_add_u64 v[4:5], v[46:47], 3, v[0:1]
	v_add_u32_e32 v46, 14, v44
	global_store_dwordx2 v[4:5], v[6:7], off
	v_lshl_add_u64 v[4:5], v[46:47], 3, v[0:1]
	s_waitcnt lgkmcnt(0)
	global_store_dwordx2 v[4:5], v[8:9], off
	ds_read2_b64 v[4:7], v2 offset0:28 offset1:35
	v_add_u32_e32 v46, 21, v44
	v_lshl_add_u64 v[8:9], v[46:47], 3, v[0:1]
	v_add_u32_e32 v46, 28, v44
	global_store_dwordx2 v[8:9], v[10:11], off
	v_lshl_add_u64 v[8:9], v[46:47], 3, v[0:1]
	s_waitcnt lgkmcnt(0)
	;; [unrolled: 8-line block ×6, first 2 shown]
	global_store_dwordx2 v[8:9], v[4:5], off
	ds_read2_b64 v[8:11], v2 offset0:98 offset1:105
	v_add_u32_e32 v46, 0x5b, v44
	v_lshl_add_u64 v[4:5], v[46:47], 3, v[0:1]
	v_add_u32_e32 v46, 0x62, v44
	global_store_dwordx2 v[4:5], v[6:7], off
	v_lshl_add_u64 v[4:5], v[46:47], 3, v[0:1]
	v_add_u32_e32 v46, 0x69, v44
	s_waitcnt lgkmcnt(0)
	global_store_dwordx2 v[4:5], v[8:9], off
	v_lshl_add_u64 v[4:5], v[46:47], 3, v[0:1]
	v_cmp_eq_u32_e32 vcc, 6, v44
	global_store_dwordx2 v[4:5], v[10:11], off
	s_and_b64 exec, exec, vcc
	s_cbranch_execz .LBB0_15
; %bb.14:
	ds_read_b64 v[2:3], v2 offset:848
	s_waitcnt lgkmcnt(0)
	global_store_dwordx2 v[0:1], v[2:3], off offset:896
.LBB0_15:
	s_endpgm
	.section	.rodata,"a",@progbits
	.p2align	6, 0x0
	.amdhsa_kernel fft_rtc_fwd_len112_factors_4_4_7_wgs_126_tpt_7_halfLds_dim1_sp_op_CI_CI_unitstride_sbrr_R2C_dirReg
		.amdhsa_group_segment_fixed_size 0
		.amdhsa_private_segment_fixed_size 0
		.amdhsa_kernarg_size 96
		.amdhsa_user_sgpr_count 2
		.amdhsa_user_sgpr_dispatch_ptr 0
		.amdhsa_user_sgpr_queue_ptr 0
		.amdhsa_user_sgpr_kernarg_segment_ptr 1
		.amdhsa_user_sgpr_dispatch_id 0
		.amdhsa_user_sgpr_kernarg_preload_length 0
		.amdhsa_user_sgpr_kernarg_preload_offset 0
		.amdhsa_user_sgpr_private_segment_size 0
		.amdhsa_uses_dynamic_stack 0
		.amdhsa_enable_private_segment 0
		.amdhsa_system_sgpr_workgroup_id_x 1
		.amdhsa_system_sgpr_workgroup_id_y 0
		.amdhsa_system_sgpr_workgroup_id_z 0
		.amdhsa_system_sgpr_workgroup_info 0
		.amdhsa_system_vgpr_workitem_id 0
		.amdhsa_next_free_vgpr 104
		.amdhsa_next_free_sgpr 24
		.amdhsa_accum_offset 104
		.amdhsa_reserve_vcc 1
		.amdhsa_float_round_mode_32 0
		.amdhsa_float_round_mode_16_64 0
		.amdhsa_float_denorm_mode_32 3
		.amdhsa_float_denorm_mode_16_64 3
		.amdhsa_dx10_clamp 1
		.amdhsa_ieee_mode 1
		.amdhsa_fp16_overflow 0
		.amdhsa_tg_split 0
		.amdhsa_exception_fp_ieee_invalid_op 0
		.amdhsa_exception_fp_denorm_src 0
		.amdhsa_exception_fp_ieee_div_zero 0
		.amdhsa_exception_fp_ieee_overflow 0
		.amdhsa_exception_fp_ieee_underflow 0
		.amdhsa_exception_fp_ieee_inexact 0
		.amdhsa_exception_int_div_zero 0
	.end_amdhsa_kernel
	.text
.Lfunc_end0:
	.size	fft_rtc_fwd_len112_factors_4_4_7_wgs_126_tpt_7_halfLds_dim1_sp_op_CI_CI_unitstride_sbrr_R2C_dirReg, .Lfunc_end0-fft_rtc_fwd_len112_factors_4_4_7_wgs_126_tpt_7_halfLds_dim1_sp_op_CI_CI_unitstride_sbrr_R2C_dirReg
                                        ; -- End function
	.section	.AMDGPU.csdata,"",@progbits
; Kernel info:
; codeLenInByte = 6796
; NumSgprs: 30
; NumVgprs: 104
; NumAgprs: 0
; TotalNumVgprs: 104
; ScratchSize: 0
; MemoryBound: 0
; FloatMode: 240
; IeeeMode: 1
; LDSByteSize: 0 bytes/workgroup (compile time only)
; SGPRBlocks: 3
; VGPRBlocks: 12
; NumSGPRsForWavesPerEU: 30
; NumVGPRsForWavesPerEU: 104
; AccumOffset: 104
; Occupancy: 4
; WaveLimiterHint : 1
; COMPUTE_PGM_RSRC2:SCRATCH_EN: 0
; COMPUTE_PGM_RSRC2:USER_SGPR: 2
; COMPUTE_PGM_RSRC2:TRAP_HANDLER: 0
; COMPUTE_PGM_RSRC2:TGID_X_EN: 1
; COMPUTE_PGM_RSRC2:TGID_Y_EN: 0
; COMPUTE_PGM_RSRC2:TGID_Z_EN: 0
; COMPUTE_PGM_RSRC2:TIDIG_COMP_CNT: 0
; COMPUTE_PGM_RSRC3_GFX90A:ACCUM_OFFSET: 25
; COMPUTE_PGM_RSRC3_GFX90A:TG_SPLIT: 0
	.text
	.p2alignl 6, 3212836864
	.fill 256, 4, 3212836864
	.type	__hip_cuid_1c14960a0bc852a2,@object ; @__hip_cuid_1c14960a0bc852a2
	.section	.bss,"aw",@nobits
	.globl	__hip_cuid_1c14960a0bc852a2
__hip_cuid_1c14960a0bc852a2:
	.byte	0                               ; 0x0
	.size	__hip_cuid_1c14960a0bc852a2, 1

	.ident	"AMD clang version 19.0.0git (https://github.com/RadeonOpenCompute/llvm-project roc-6.4.0 25133 c7fe45cf4b819c5991fe208aaa96edf142730f1d)"
	.section	".note.GNU-stack","",@progbits
	.addrsig
	.addrsig_sym __hip_cuid_1c14960a0bc852a2
	.amdgpu_metadata
---
amdhsa.kernels:
  - .agpr_count:     0
    .args:
      - .actual_access:  read_only
        .address_space:  global
        .offset:         0
        .size:           8
        .value_kind:     global_buffer
      - .actual_access:  read_only
        .address_space:  global
        .offset:         8
        .size:           8
        .value_kind:     global_buffer
      - .actual_access:  read_only
        .address_space:  global
        .offset:         16
        .size:           8
        .value_kind:     global_buffer
      - .actual_access:  read_only
        .address_space:  global
        .offset:         24
        .size:           8
        .value_kind:     global_buffer
      - .offset:         32
        .size:           8
        .value_kind:     by_value
      - .actual_access:  read_only
        .address_space:  global
        .offset:         40
        .size:           8
        .value_kind:     global_buffer
      - .actual_access:  read_only
        .address_space:  global
        .offset:         48
        .size:           8
        .value_kind:     global_buffer
      - .offset:         56
        .size:           4
        .value_kind:     by_value
      - .actual_access:  read_only
        .address_space:  global
        .offset:         64
        .size:           8
        .value_kind:     global_buffer
      - .actual_access:  read_only
        .address_space:  global
        .offset:         72
        .size:           8
        .value_kind:     global_buffer
      - .actual_access:  read_only
        .address_space:  global
        .offset:         80
        .size:           8
        .value_kind:     global_buffer
      - .actual_access:  write_only
        .address_space:  global
        .offset:         88
        .size:           8
        .value_kind:     global_buffer
    .group_segment_fixed_size: 0
    .kernarg_segment_align: 8
    .kernarg_segment_size: 96
    .language:       OpenCL C
    .language_version:
      - 2
      - 0
    .max_flat_workgroup_size: 126
    .name:           fft_rtc_fwd_len112_factors_4_4_7_wgs_126_tpt_7_halfLds_dim1_sp_op_CI_CI_unitstride_sbrr_R2C_dirReg
    .private_segment_fixed_size: 0
    .sgpr_count:     30
    .sgpr_spill_count: 0
    .symbol:         fft_rtc_fwd_len112_factors_4_4_7_wgs_126_tpt_7_halfLds_dim1_sp_op_CI_CI_unitstride_sbrr_R2C_dirReg.kd
    .uniform_work_group_size: 1
    .uses_dynamic_stack: false
    .vgpr_count:     104
    .vgpr_spill_count: 0
    .wavefront_size: 64
amdhsa.target:   amdgcn-amd-amdhsa--gfx950
amdhsa.version:
  - 1
  - 2
...

	.end_amdgpu_metadata
